;; amdgpu-corpus repo=ROCm/rocFFT kind=compiled arch=gfx1030 opt=O3
	.text
	.amdgcn_target "amdgcn-amd-amdhsa--gfx1030"
	.amdhsa_code_object_version 6
	.protected	fft_rtc_back_len112_factors_2_4_7_2_wgs_128_tpt_8_dim3_dp_op_CI_CI_sbrc_aligned_dirReg ; -- Begin function fft_rtc_back_len112_factors_2_4_7_2_wgs_128_tpt_8_dim3_dp_op_CI_CI_sbrc_aligned_dirReg
	.globl	fft_rtc_back_len112_factors_2_4_7_2_wgs_128_tpt_8_dim3_dp_op_CI_CI_sbrc_aligned_dirReg
	.p2align	8
	.type	fft_rtc_back_len112_factors_2_4_7_2_wgs_128_tpt_8_dim3_dp_op_CI_CI_sbrc_aligned_dirReg,@function
fft_rtc_back_len112_factors_2_4_7_2_wgs_128_tpt_8_dim3_dp_op_CI_CI_sbrc_aligned_dirReg: ; @fft_rtc_back_len112_factors_2_4_7_2_wgs_128_tpt_8_dim3_dp_op_CI_CI_sbrc_aligned_dirReg
; %bb.0:
	s_clause 0x1
	s_load_dwordx8 s[8:15], s[4:5], 0x0
	s_load_dwordx2 s[20:21], s[4:5], 0x50
	s_mov_b32 s23, 0
	s_waitcnt lgkmcnt(0)
	s_load_dwordx4 s[16:19], s[10:11], 0x8
	s_waitcnt lgkmcnt(0)
	s_add_i32 s0, s16, -1
	s_lshr_b32 s7, s0, 4
	s_add_i32 s7, s7, 1
	v_cvt_f32_u32_e32 v1, s7
	s_sub_i32 s1, 0, s7
	v_rcp_iflag_f32_e32 v1, v1
	v_mul_f32_e32 v1, 0x4f7ffffe, v1
	v_cvt_u32_f32_e32 v1, v1
	v_readfirstlane_b32 s0, v1
	s_mul_i32 s1, s1, s0
	s_mul_hi_u32 s1, s0, s1
	s_add_i32 s0, s0, s1
	s_mul_hi_u32 s10, s6, s0
	s_load_dwordx4 s[0:3], s[12:13], 0x0
	s_mul_i32 s11, s10, s7
	s_waitcnt lgkmcnt(0)
	s_sub_i32 s3, s6, s11
	s_add_i32 s11, s10, 1
	s_sub_i32 s16, s3, s7
	s_cmp_ge_u32 s3, s7
	s_cselect_b32 s10, s11, s10
	s_cselect_b32 s3, s16, s3
	s_add_i32 s11, s10, 1
	s_cmp_ge_u32 s3, s7
	s_cselect_b32 s22, s11, s10
	v_cmp_lt_u64_e64 s3, s[22:23], s[18:19]
	s_mov_b64 s[10:11], s[22:23]
	s_and_b32 vcc_lo, exec_lo, s3
	s_cbranch_vccnz .LBB0_2
; %bb.1:
	v_cvt_f32_u32_e32 v1, s18
	s_sub_i32 s10, 0, s18
	v_rcp_iflag_f32_e32 v1, v1
	v_mul_f32_e32 v1, 0x4f7ffffe, v1
	v_cvt_u32_f32_e32 v1, v1
	v_readfirstlane_b32 s3, v1
	s_mul_i32 s10, s10, s3
	s_mul_hi_u32 s10, s3, s10
	s_add_i32 s3, s3, s10
	s_mul_hi_u32 s3, s22, s3
	s_mul_i32 s3, s3, s18
	s_sub_i32 s3, s22, s3
	s_sub_i32 s10, s3, s18
	s_cmp_ge_u32 s3, s18
	s_cselect_b32 s3, s10, s3
	s_sub_i32 s10, s3, s18
	s_cmp_ge_u32 s3, s18
	s_cselect_b32 s10, s10, s3
.LBB0_2:
	s_mul_i32 s3, s7, s18
	v_mul_u32_u24_e32 v2, 0x24a, v0
	v_cvt_f32_u32_e32 v1, s3
	v_or_b32_e32 v3, 0x80, v0
	v_mov_b32_e32 v15, 0x24a
	s_load_dwordx4 s[16:19], s[12:13], 0x10
	v_lshrrev_b32_e32 v11, 16, v2
	v_rcp_iflag_f32_e32 v1, v1
	s_mul_i32 s7, s22, s7
	v_mul_u32_u24_sdwa v2, v3, v15 dst_sel:DWORD dst_unused:UNUSED_PAD src0_sel:WORD_0 src1_sel:DWORD
	s_sub_i32 s7, s6, s7
	v_mul_lo_u16 v4, 0x70, v11
	s_lshl_b32 s11, s7, 4
	s_sub_i32 s12, 0, s3
	v_lshrrev_b32_e32 v12, 16, v2
	v_mul_lo_u32 v9, s2, v11
	v_sub_nc_u16 v13, v0, v4
	v_mul_f32_e32 v1, 0x4f7ffffe, v1
	v_mov_b32_e32 v10, 0
	v_mul_lo_u16 v2, 0x70, v12
	s_mul_i32 s22, s11, s2
	v_and_b32_e32 v5, 0xffff, v13
	v_cvt_u32_f32_e32 v1, v1
	v_or_b32_e32 v17, 0x200, v0
	v_sub_nc_u16 v14, v3, v2
	s_waitcnt lgkmcnt(0)
	s_mul_i32 s13, s17, s10
	s_mul_hi_u32 s17, s16, s10
	v_readfirstlane_b32 s7, v1
	v_mad_u64_u32 v[1:2], null, s0, v5, 0
	v_and_b32_e32 v7, 0xffff, v14
	v_mov_b32_e32 v18, 0x493
	s_mul_i32 s12, s12, s7
	v_or_b32_e32 v19, 0x280, v0
	s_mul_hi_u32 s12, s7, s12
	v_mad_u64_u32 v[3:4], null, s0, v7, 0
	s_add_i32 s12, s7, s12
	s_add_i32 s7, s17, s13
	s_mul_hi_u32 s12, s6, s12
	v_or_b32_e32 v20, 0x300, v0
	s_mul_i32 s13, s12, s3
	v_or_b32_e32 v21, 0x380, v0
	s_sub_i32 s6, s6, s13
	s_add_i32 s13, s12, 1
	s_sub_i32 s17, s6, s3
	s_cmp_ge_u32 s6, s3
	v_mad_u64_u32 v[5:6], null, s1, v5, v[2:3]
	s_cselect_b32 s12, s13, s12
	s_cselect_b32 s6, s17, s6
	s_add_i32 s13, s12, 1
	s_cmp_ge_u32 s6, s3
	s_mul_i32 s6, s16, s10
	s_cselect_b32 s33, s13, s12
	v_mov_b32_e32 v2, v5
	s_mul_i32 s3, s19, s33
	s_mul_hi_u32 s13, s18, s33
	s_mul_i32 s12, s18, s33
	s_add_i32 s13, s13, s3
	v_mad_u64_u32 v[4:5], null, s1, v7, v[4:5]
	s_lshl_b64 s[12:13], s[12:13], 4
	v_lshlrev_b64 v[1:2], 4, v[1:2]
	s_add_u32 s3, s20, s12
	s_addc_u32 s12, s21, s13
	s_lshl_b64 s[6:7], s[6:7], 4
	v_lshlrev_b64 v[5:6], 4, v[9:10]
	s_add_u32 s3, s3, s6
	v_mul_lo_u32 v9, s2, v12
	s_addc_u32 s12, s12, s7
	s_lshl_b64 s[6:7], s[22:23], 4
	v_lshlrev_b64 v[3:4], 4, v[3:4]
	s_add_u32 s3, s3, s6
	s_addc_u32 s6, s12, s7
	v_add_co_u32 v7, vcc_lo, s3, v1
	v_add_co_ci_u32_e32 v8, vcc_lo, s6, v2, vcc_lo
	v_lshlrev_b64 v[1:2], 4, v[9:10]
	v_add_co_u32 v9, vcc_lo, s3, v3
	v_add_co_ci_u32_e32 v16, vcc_lo, s6, v4, vcc_lo
	v_add_co_u32 v3, vcc_lo, v7, v5
	v_add_co_ci_u32_e32 v4, vcc_lo, v8, v6, vcc_lo
	;; [unrolled: 2-line block ×3, first 2 shown]
	v_or_b32_e32 v9, 0x100, v0
	v_or_b32_e32 v16, 0x180, v0
	v_mul_u32_u24_sdwa v30, v17, v18 dst_sel:DWORD dst_unused:UNUSED_PAD src0_sel:WORD_0 src1_sel:DWORD
	v_mul_u32_u24_sdwa v31, v19, v18 dst_sel:DWORD dst_unused:UNUSED_PAD src0_sel:WORD_0 src1_sel:DWORD
	;; [unrolled: 1-line block ×6, first 2 shown]
	v_or_b32_e32 v22, 0x400, v0
	v_mov_b32_e32 v23, 0x925
	v_lshrrev_b32_e32 v63, 16, v29
	v_lshrrev_b32_e32 v64, 16, v15
	v_or_b32_e32 v24, 0x480, v0
	v_or_b32_e32 v25, 0x500, v0
	;; [unrolled: 1-line block ×5, first 2 shown]
	v_lshrrev_b32_e32 v66, 17, v31
	v_lshrrev_b32_e32 v68, 17, v18
	v_mul_lo_u16 v15, 0x70, v63
	v_mul_lo_u16 v18, 0x70, v64
	v_mul_u32_u24_sdwa v33, v22, v23 dst_sel:DWORD dst_unused:UNUSED_PAD src0_sel:WORD_0 src1_sel:DWORD
	v_mul_u32_u24_sdwa v34, v24, v23 dst_sel:DWORD dst_unused:UNUSED_PAD src0_sel:WORD_0 src1_sel:DWORD
	;; [unrolled: 1-line block ×6, first 2 shown]
	v_lshrrev_b32_e32 v65, 17, v30
	v_mul_lo_u16 v29, 0x70, v66
	v_mul_lo_u16 v31, 0x70, v68
	v_sub_nc_u16 v75, v9, v15
	v_sub_nc_u16 v76, v16, v18
	v_lshrrev_b32_e32 v74, 18, v23
	v_mul_lo_u16 v23, 0x70, v65
	v_sub_nc_u16 v78, v19, v29
	v_sub_nc_u16 v80, v21, v31
	v_and_b32_e32 v19, 0xffff, v75
	v_and_b32_e32 v21, 0xffff, v76
	v_lshrrev_b32_e32 v67, 17, v32
	v_sub_nc_u16 v77, v17, v23
	v_lshrrev_b32_e32 v69, 18, v33
	v_mad_u64_u32 v[15:16], null, s0, v19, 0
	v_mad_u64_u32 v[17:18], null, s0, v21, 0
	v_mul_lo_u16 v30, 0x70, v67
	v_mul_lo_u32 v9, s2, v63
	v_mul_lo_u16 v32, 0x70, v69
	v_lshrrev_b32_e32 v70, 18, v34
	v_lshrrev_b32_e32 v71, 18, v35
	v_sub_nc_u16 v79, v20, v30
	v_mad_u64_u32 v[19:20], null, s1, v19, v[16:17]
	v_lshrrev_b32_e32 v72, 18, v36
	v_lshrrev_b32_e32 v73, 18, v37
	v_mul_lo_u16 v37, 0x70, v74
	v_sub_nc_u16 v81, v22, v32
	v_mul_lo_u16 v33, 0x70, v70
	v_mul_lo_u16 v34, 0x70, v71
	v_mad_u64_u32 v[20:21], null, s1, v21, v[18:19]
	v_mov_b32_e32 v16, v19
	v_lshlrev_b64 v[21:22], 4, v[9:10]
	v_mul_lo_u32 v9, s2, v64
	v_mul_lo_u16 v35, 0x70, v72
	v_mul_lo_u16 v36, 0x70, v73
	v_lshlrev_b64 v[15:16], 4, v[15:16]
	v_mov_b32_e32 v18, v20
	v_sub_nc_u16 v86, v28, v37
	v_and_b32_e32 v37, 0xffff, v77
	v_and_b32_e32 v38, 0xffff, v78
	v_sub_nc_u16 v82, v24, v33
	v_lshlrev_b64 v[17:18], 4, v[17:18]
	v_sub_nc_u16 v83, v25, v34
	v_sub_nc_u16 v84, v26, v35
	;; [unrolled: 1-line block ×3, first 2 shown]
	v_mad_u64_u32 v[23:24], null, s0, v37, 0
	v_mad_u64_u32 v[25:26], null, s0, v38, 0
	v_lshlrev_b64 v[35:36], 4, v[9:10]
	v_add_co_u32 v9, vcc_lo, s3, v15
	v_and_b32_e32 v39, 0xffff, v79
	v_add_co_ci_u32_e32 v16, vcc_lo, s6, v16, vcc_lo
	v_and_b32_e32 v40, 0xffff, v80
	v_and_b32_e32 v41, 0xffff, v81
	v_add_co_u32 v17, vcc_lo, s3, v17
	v_and_b32_e32 v42, 0xffff, v82
	v_add_co_ci_u32_e32 v18, vcc_lo, s6, v18, vcc_lo
	v_add_co_u32 v15, vcc_lo, v9, v21
	v_mad_u64_u32 v[27:28], null, s0, v39, 0
	v_mad_u64_u32 v[29:30], null, s0, v40, 0
	;; [unrolled: 1-line block ×3, first 2 shown]
	v_mov_b32_e32 v19, v24
	v_mov_b32_e32 v20, v26
	v_add_co_ci_u32_e32 v16, vcc_lo, v16, v22, vcc_lo
	v_and_b32_e32 v43, 0xffff, v83
	v_mad_u64_u32 v[33:34], null, s0, v42, 0
	v_add_co_u32 v21, vcc_lo, v17, v35
	v_add_co_ci_u32_e32 v22, vcc_lo, v18, v36, vcc_lo
	v_mad_u64_u32 v[35:36], null, s1, v37, v[19:20]
	v_mad_u64_u32 v[19:20], null, s1, v38, v[20:21]
	;; [unrolled: 1-line block ×3, first 2 shown]
	v_mov_b32_e32 v9, v28
	v_mov_b32_e32 v17, v30
	v_mov_b32_e32 v18, v32
	v_mov_b32_e32 v20, v34
	v_and_b32_e32 v48, 0xffff, v84
	v_mad_u64_u32 v[38:39], null, s1, v39, v[9:10]
	v_mad_u64_u32 v[39:40], null, s1, v40, v[17:18]
	;; [unrolled: 1-line block ×4, first 2 shown]
	v_mov_b32_e32 v9, v37
	v_mad_u64_u32 v[41:42], null, s0, v48, 0
	v_and_b32_e32 v18, 0xffff, v85
	v_and_b32_e32 v20, 0xffff, v86
	v_mad_u64_u32 v[43:44], null, s1, v43, v[9:10]
	v_mov_b32_e32 v28, v38
	v_mad_u64_u32 v[44:45], null, s0, v18, 0
	v_mov_b32_e32 v9, v42
	v_mov_b32_e32 v30, v39
	v_mad_u64_u32 v[46:47], null, s0, v20, 0
	v_mov_b32_e32 v24, v35
	v_mad_u64_u32 v[48:49], null, s1, v48, v[9:10]
	v_mov_b32_e32 v9, v45
	v_mov_b32_e32 v34, v40
	;; [unrolled: 1-line block ×3, first 2 shown]
	v_lshlrev_b64 v[23:24], 4, v[23:24]
	v_mov_b32_e32 v32, v17
	v_mad_u64_u32 v[38:39], null, s1, v18, v[9:10]
	v_mul_lo_u32 v9, s2, v65
	v_mov_b32_e32 v42, v48
	v_mov_b32_e32 v17, v47
	v_lshlrev_b64 v[35:36], 4, v[36:37]
	v_mov_b32_e32 v26, v19
	v_add_co_u32 v23, vcc_lo, s3, v23
	v_mov_b32_e32 v45, v38
	v_lshlrev_b64 v[39:40], 4, v[9:10]
	v_mul_lo_u32 v9, s2, v66
	v_lshlrev_b64 v[37:38], 4, v[41:42]
	v_mad_u64_u32 v[49:50], null, s1, v20, v[17:18]
	v_lshlrev_b64 v[41:42], 4, v[44:45]
	v_add_co_ci_u32_e32 v24, vcc_lo, s6, v24, vcc_lo
	v_lshlrev_b64 v[25:26], 4, v[25:26]
	v_lshlrev_b64 v[43:44], 4, v[9:10]
	v_mul_lo_u32 v9, s2, v67
	v_add_co_u32 v23, vcc_lo, v23, v39
	v_add_co_ci_u32_e32 v24, vcc_lo, v24, v40, vcc_lo
	v_mov_b32_e32 v47, v49
	v_lshlrev_b64 v[27:28], 4, v[27:28]
	v_lshlrev_b64 v[29:30], 4, v[29:30]
	;; [unrolled: 1-line block ×3, first 2 shown]
	v_mul_lo_u32 v9, s2, v68
	v_add_co_u32 v45, vcc_lo, s3, v25
	v_lshlrev_b64 v[47:48], 4, v[46:47]
	v_add_co_ci_u32_e32 v46, vcc_lo, s6, v26, vcc_lo
	v_lshlrev_b64 v[31:32], 4, v[31:32]
	v_add_co_u32 v49, vcc_lo, s3, v27
	v_lshlrev_b64 v[25:26], 4, v[9:10]
	v_mul_lo_u32 v9, s2, v69
	v_add_co_ci_u32_e32 v50, vcc_lo, s6, v28, vcc_lo
	v_add_co_u32 v51, vcc_lo, s3, v29
	v_add_co_ci_u32_e32 v52, vcc_lo, s6, v30, vcc_lo
	v_lshlrev_b64 v[33:34], 4, v[33:34]
	v_add_co_u32 v53, vcc_lo, s3, v31
	v_add_co_ci_u32_e32 v54, vcc_lo, s6, v32, vcc_lo
	v_add_co_u32 v27, vcc_lo, v45, v43
	v_lshlrev_b64 v[29:30], 4, v[9:10]
	v_mul_lo_u32 v9, s2, v70
	v_add_co_ci_u32_e32 v28, vcc_lo, v46, v44, vcc_lo
	v_add_co_u32 v55, vcc_lo, s3, v33
	s_clause 0x1
	global_load_dwordx4 v[1:4], v[3:4], off
	global_load_dwordx4 v[5:8], v[5:6], off
	v_add_co_ci_u32_e32 v56, vcc_lo, s6, v34, vcc_lo
	v_add_co_u32 v31, vcc_lo, v49, v39
	v_add_co_ci_u32_e32 v32, vcc_lo, v50, v40, vcc_lo
	v_lshlrev_b64 v[33:34], 4, v[9:10]
	v_mul_lo_u32 v9, s2, v71
	v_add_co_u32 v57, vcc_lo, s3, v35
	v_add_co_ci_u32_e32 v58, vcc_lo, s6, v36, vcc_lo
	v_add_co_u32 v35, vcc_lo, v51, v25
	v_add_co_ci_u32_e32 v36, vcc_lo, v52, v26, vcc_lo
	s_clause 0x1
	global_load_dwordx4 v[15:18], v[15:16], off
	global_load_dwordx4 v[19:22], v[21:22], off
	v_add_co_u32 v59, vcc_lo, s3, v37
	global_load_dwordx4 v[23:26], v[23:24], off
	v_lshlrev_b64 v[43:44], 4, v[9:10]
	v_mul_lo_u32 v9, s2, v72
	v_add_co_ci_u32_e32 v60, vcc_lo, s6, v38, vcc_lo
	v_add_co_u32 v39, vcc_lo, v53, v29
	v_add_co_ci_u32_e32 v40, vcc_lo, v54, v30, vcc_lo
	global_load_dwordx4 v[27:30], v[27:28], off
	v_add_co_u32 v61, vcc_lo, s3, v41
	v_add_co_ci_u32_e32 v62, vcc_lo, s6, v42, vcc_lo
	v_lshlrev_b64 v[45:46], 4, v[9:10]
	v_mul_lo_u32 v9, s2, v73
	v_add_co_u32 v49, vcc_lo, v55, v33
	v_add_co_ci_u32_e32 v50, vcc_lo, v56, v34, vcc_lo
	s_clause 0x2
	global_load_dwordx4 v[31:34], v[31:32], off
	global_load_dwordx4 v[35:38], v[35:36], off
	;; [unrolled: 1-line block ×3, first 2 shown]
	v_add_co_u32 v53, vcc_lo, v57, v43
	v_lshlrev_b64 v[51:52], 4, v[9:10]
	v_mul_lo_u32 v9, s2, v74
	v_add_co_ci_u32_e32 v54, vcc_lo, v58, v44, vcc_lo
	v_add_co_u32 v55, vcc_lo, v59, v45
	v_add_co_ci_u32_e32 v56, vcc_lo, v60, v46, vcc_lo
	global_load_dwordx4 v[43:46], v[49:50], off
	v_lshlrev_b64 v[9:10], 4, v[9:10]
	v_add_co_u32 v47, vcc_lo, s3, v47
	v_add_co_ci_u32_e32 v48, vcc_lo, s6, v48, vcc_lo
	v_add_co_u32 v57, vcc_lo, v61, v51
	v_add_co_ci_u32_e32 v58, vcc_lo, v62, v52, vcc_lo
	;; [unrolled: 2-line block ×3, first 2 shown]
	s_clause 0x3
	global_load_dwordx4 v[47:50], v[53:54], off
	global_load_dwordx4 v[51:54], v[55:56], off
	;; [unrolled: 1-line block ×4, first 2 shown]
	v_lshlrev_b16 v9, 4, v13
	v_lshlrev_b16 v10, 4, v14
	;; [unrolled: 1-line block ×4, first 2 shown]
	v_and_b32_e32 v87, 15, v0
	v_or_b32_e32 v9, v9, v11
	v_or_b32_e32 v10, v10, v12
	;; [unrolled: 1-line block ×3, first 2 shown]
	v_lshlrev_b16 v13, 4, v77
	v_or_b32_e32 v12, v14, v64
	v_and_b32_e32 v9, 0xffff, v9
	v_and_b32_e32 v10, 0xffff, v10
	;; [unrolled: 1-line block ×3, first 2 shown]
	v_or_b32_e32 v13, v13, v65
	v_and_b32_e32 v12, 0xffff, v12
	v_lshl_add_u32 v9, v9, 4, 0
	v_lshl_add_u32 v10, v10, 4, 0
	;; [unrolled: 1-line block ×3, first 2 shown]
	v_lshrrev_b32_e32 v99, 4, v0
	v_lshl_add_u32 v12, v12, 4, 0
	v_lshlrev_b32_e32 v88, 4, v87
	s_load_dwordx2 s[0:1], s[4:5], 0x58
	v_cmp_gt_u32_e32 vcc_lo, 64, v0
	v_lshlrev_b32_e32 v63, 8, v99
	v_or_b32_e32 v93, 8, v99
	v_or_b32_e32 v89, 16, v99
	v_or_b32_e32 v92, 24, v99
	v_or_b32_e32 v94, 32, v99
	v_add3_u32 v97, 0, v63, v88
	v_or_b32_e32 v96, 40, v99
	v_or_b32_e32 v98, 48, v99
	v_lshlrev_b32_e32 v100, 8, v92
	s_waitcnt vmcnt(13)
	ds_write_b128 v9, v[1:4]
	s_waitcnt vmcnt(12)
	ds_write_b128 v10, v[5:8]
	v_and_b32_e32 v1, 0xffff, v13
	v_lshlrev_b16 v2, 4, v78
	v_lshlrev_b16 v3, 4, v79
	;; [unrolled: 1-line block ×4, first 2 shown]
	v_lshl_add_u32 v1, v1, 4, 0
	v_or_b32_e32 v2, v2, v66
	v_or_b32_e32 v3, v3, v67
	;; [unrolled: 1-line block ×3, first 2 shown]
	s_waitcnt vmcnt(11)
	ds_write_b128 v11, v[15:18]
	s_waitcnt vmcnt(10)
	ds_write_b128 v12, v[19:22]
	v_and_b32_e32 v3, 0xffff, v3
	v_and_b32_e32 v4, 0xffff, v4
	s_waitcnt vmcnt(9)
	ds_write_b128 v1, v[23:26]
	v_and_b32_e32 v1, 0xffff, v2
	v_or_b32_e32 v2, v5, v69
	v_lshlrev_b16 v5, 4, v82
	v_lshl_add_u32 v3, v3, 4, 0
	v_lshl_add_u32 v4, v4, 4, 0
	v_lshl_add_u32 v1, v1, 4, 0
	v_and_b32_e32 v2, 0xffff, v2
	v_or_b32_e32 v5, v5, v70
	s_load_dwordx8 s[12:19], s[14:15], 0x0
	s_waitcnt vmcnt(8)
	ds_write_b128 v1, v[27:30]
	v_lshl_add_u32 v1, v2, 4, 0
	s_waitcnt vmcnt(7)
	ds_write_b128 v3, v[31:34]
	s_waitcnt vmcnt(6)
	ds_write_b128 v4, v[35:38]
	v_and_b32_e32 v2, 0xffff, v5
	v_lshlrev_b16 v3, 4, v83
	v_lshlrev_b16 v5, 4, v86
	s_waitcnt vmcnt(5)
	ds_write_b128 v1, v[39:42]
	v_lshlrev_b16 v1, 4, v84
	v_lshl_add_u32 v2, v2, 4, 0
	v_or_b32_e32 v3, v3, v71
	v_lshlrev_b16 v4, 4, v85
	v_or_b32_e32 v1, v1, v72
	s_waitcnt vmcnt(4)
	ds_write_b128 v2, v[43:46]
	v_and_b32_e32 v2, 0xffff, v3
	v_or_b32_e32 v3, v5, v74
	v_or_b32_e32 v4, v4, v73
	v_and_b32_e32 v1, 0xffff, v1
	v_lshl_add_u32 v2, v2, 4, 0
	v_and_b32_e32 v3, 0xffff, v3
	v_and_b32_e32 v4, 0xffff, v4
	v_lshl_add_u32 v1, v1, 4, 0
	v_lshl_add_u32 v3, v3, 4, 0
	;; [unrolled: 1-line block ×3, first 2 shown]
	s_waitcnt vmcnt(3)
	ds_write_b128 v2, v[47:50]
	s_waitcnt vmcnt(2)
	ds_write_b128 v1, v[51:54]
	;; [unrolled: 2-line block ×4, first 2 shown]
	s_waitcnt lgkmcnt(0)
	s_barrier
	buffer_gl0_inv
	ds_read_b128 v[1:4], v97 offset:14336
	ds_read_b128 v[5:8], v97
	ds_read_b128 v[9:12], v97 offset:2048
	ds_read_b128 v[13:16], v97 offset:16384
	ds_read_b128 v[17:20], v97 offset:18432
	ds_read_b128 v[21:24], v97 offset:4096
	ds_read_b128 v[25:28], v97 offset:6144
	ds_read_b128 v[29:32], v97 offset:20480
	ds_read_b128 v[33:36], v97 offset:22528
	ds_read_b128 v[37:40], v97 offset:12288
	ds_read_b128 v[41:44], v97 offset:8192
	ds_read_b128 v[45:48], v97 offset:10240
	ds_read_b128 v[49:52], v97 offset:24576
	ds_read_b128 v[57:60], v97 offset:26624
	v_add_nc_u32_e32 v61, v97, v63
	s_waitcnt lgkmcnt(0)
	s_barrier
	buffer_gl0_inv
	v_add_f64 v[53:54], v[5:6], -v[1:2]
	v_add_f64 v[55:56], v[7:8], -v[3:4]
	;; [unrolled: 1-line block ×14, first 2 shown]
	v_fma_f64 v[57:58], v[5:6], 2.0, -v[53:54]
	v_fma_f64 v[59:60], v[7:8], 2.0, -v[55:56]
	;; [unrolled: 1-line block ×8, first 2 shown]
	v_lshlrev_b32_e32 v5, 9, v93
	v_lshlrev_b32_e32 v6, 9, v89
	v_fma_f64 v[41:42], v[41:42], 2.0, -v[33:34]
	v_fma_f64 v[43:44], v[43:44], 2.0, -v[35:36]
	;; [unrolled: 1-line block ×4, first 2 shown]
	v_add3_u32 v62, 0, v5, v88
	v_add3_u32 v63, 0, v6, v88
	v_fma_f64 v[5:6], v[37:38], 2.0, -v[1:2]
	v_fma_f64 v[7:8], v[39:40], 2.0, -v[3:4]
	ds_write_b128 v61, v[53:56] offset:256
	ds_write_b128 v61, v[57:60]
	ds_write_b128 v62, v[9:12]
	v_lshlrev_b32_e32 v9, 9, v92
	v_lshlrev_b32_e32 v10, 9, v94
	;; [unrolled: 1-line block ×4, first 2 shown]
	ds_write_b128 v62, v[13:16] offset:256
	v_add3_u32 v9, 0, v9, v88
	ds_write_b128 v63, v[21:24]
	ds_write_b128 v63, v[17:20] offset:256
	v_add3_u32 v10, 0, v10, v88
	ds_write_b128 v9, v[25:28]
	ds_write_b128 v9, v[29:32] offset:256
	v_add3_u32 v9, 0, v11, v88
	v_add3_u32 v11, 0, v12, v88
	v_and_b32_e32 v12, 0x70, v0
	ds_write_b128 v10, v[41:44]
	ds_write_b128 v10, v[33:36] offset:256
	ds_write_b128 v9, v[45:48]
	ds_write_b128 v9, v[49:52] offset:256
	ds_write_b128 v11, v[5:8]
	v_lshlrev_b32_e32 v10, 8, v93
	ds_write_b128 v11, v[1:4] offset:256
	v_lshlrev_b32_e32 v9, 4, v12
	v_lshlrev_b32_e32 v11, 8, v89
	s_waitcnt lgkmcnt(0)
	v_add3_u32 v90, 0, v10, v88
	s_barrier
	v_add3_u32 v95, 0, v9, v88
	buffer_gl0_inv
	v_add3_u32 v91, 0, v11, v88
	ds_read_b128 v[21:24], v95
	ds_read_b128 v[65:68], v95 offset:7168
	ds_read_b128 v[57:60], v95 offset:14336
	;; [unrolled: 1-line block ×3, first 2 shown]
	ds_read_b128 v[25:28], v90
	ds_read_b128 v[17:20], v91
	ds_read_b128 v[61:64], v95 offset:9216
	ds_read_b128 v[45:48], v95 offset:11264
	;; [unrolled: 1-line block ×6, first 2 shown]
                                        ; implicit-def: $vgpr11_vgpr12
                                        ; implicit-def: $vgpr15_vgpr16
	s_and_saveexec_b32 s2, vcc_lo
	s_cbranch_execz .LBB0_4
; %bb.3:
	v_add3_u32 v5, 0, v100, v88
	ds_read_b128 v[1:4], v95 offset:13312
	ds_read_b128 v[9:12], v95 offset:20480
	ds_read_b128 v[5:8], v5
	ds_read_b128 v[13:16], v95 offset:27648
.LBB0_4:
	s_or_b32 exec_lo, exec_lo, s2
	v_bfe_u32 v77, v0, 4, 1
	v_lshl_or_b32 v86, v89, 2, v99
	v_mul_u32_u24_e32 v29, 3, v77
	v_lshlrev_b32_e32 v29, 4, v29
	s_clause 0x2
	global_load_dwordx4 v[37:40], v29, s[8:9]
	global_load_dwordx4 v[33:36], v29, s[8:9] offset:16
	global_load_dwordx4 v[29:32], v29, s[8:9] offset:32
	s_waitcnt vmcnt(0) lgkmcnt(0)
	s_barrier
	buffer_gl0_inv
	v_mul_f64 v[78:79], v[67:68], v[39:40]
	v_mul_f64 v[80:81], v[65:66], v[39:40]
	;; [unrolled: 1-line block ×18, first 2 shown]
	v_fma_f64 v[65:66], v[65:66], v[37:38], v[78:79]
	v_fma_f64 v[67:68], v[67:68], v[37:38], -v[80:81]
	v_fma_f64 v[57:58], v[57:58], v[33:34], v[82:83]
	v_fma_f64 v[59:60], v[59:60], v[33:34], -v[84:85]
	;; [unrolled: 2-line block ×9, first 2 shown]
	v_add_f64 v[57:58], v[21:22], -v[57:58]
	v_add_f64 v[59:60], v[23:24], -v[59:60]
	;; [unrolled: 1-line block ×12, first 2 shown]
	v_fma_f64 v[84:85], v[21:22], 2.0, -v[57:58]
	v_fma_f64 v[101:102], v[23:24], 2.0, -v[59:60]
	;; [unrolled: 1-line block ×8, first 2 shown]
	v_add_f64 v[21:22], v[78:79], v[41:42]
	v_fma_f64 v[103:104], v[17:18], 2.0, -v[71:72]
	v_fma_f64 v[105:106], v[19:20], 2.0, -v[82:83]
	;; [unrolled: 1-line block ×4, first 2 shown]
	v_add_f64 v[17:18], v[57:58], v[75:76]
	v_add_f64 v[19:20], v[59:60], -v[73:74]
	v_add_f64 v[45:46], v[71:72], v[49:50]
	v_add_f64 v[25:26], v[84:85], -v[23:24]
	v_add_f64 v[27:28], v[101:102], -v[43:44]
	;; [unrolled: 1-line block ×8, first 2 shown]
	v_lshl_or_b32 v53, v99, 2, v99
	v_lshl_or_b32 v54, v93, 2, v99
	v_fma_f64 v[55:56], v[59:60], 2.0, -v[19:20]
	v_fma_f64 v[69:70], v[71:72], 2.0, -v[45:46]
	v_and_b32_e32 v107, 25, v53
	v_and_b32_e32 v108, 57, v54
	v_fma_f64 v[53:54], v[57:58], 2.0, -v[17:18]
	v_fma_f64 v[61:62], v[84:85], 2.0, -v[25:26]
	;; [unrolled: 1-line block ×5, first 2 shown]
	v_and_b32_e32 v78, 0x79, v86
	v_fma_f64 v[65:66], v[65:66], 2.0, -v[41:42]
	v_fma_f64 v[67:68], v[67:68], 2.0, -v[43:44]
	v_lshlrev_b32_e32 v79, 8, v107
	v_lshlrev_b32_e32 v80, 8, v108
	;; [unrolled: 1-line block ×3, first 2 shown]
	v_fma_f64 v[73:74], v[103:104], 2.0, -v[49:50]
	v_fma_f64 v[75:76], v[105:106], 2.0, -v[51:52]
	;; [unrolled: 1-line block ×3, first 2 shown]
	v_add3_u32 v79, 0, v79, v88
	v_add3_u32 v80, 0, v80, v88
	;; [unrolled: 1-line block ×3, first 2 shown]
	ds_write_b128 v79, v[17:20] offset:1536
	ds_write_b128 v79, v[53:56] offset:512
	;; [unrolled: 1-line block ×3, first 2 shown]
	ds_write_b128 v79, v[61:64]
	ds_write_b128 v80, v[65:68]
	ds_write_b128 v80, v[57:60] offset:512
	ds_write_b128 v80, v[41:44] offset:1024
	;; [unrolled: 1-line block ×3, first 2 shown]
	ds_write_b128 v78, v[73:76]
	ds_write_b128 v78, v[69:72] offset:512
	ds_write_b128 v78, v[49:52] offset:1024
	ds_write_b128 v78, v[45:48] offset:1536
	s_and_saveexec_b32 s2, vcc_lo
	s_cbranch_execz .LBB0_6
; %bb.5:
	v_mul_f64 v[17:18], v[9:10], v[35:36]
	v_mul_f64 v[19:20], v[3:4], v[39:40]
	;; [unrolled: 1-line block ×6, first 2 shown]
	v_fma_f64 v[11:12], v[11:12], v[33:34], -v[17:18]
	v_fma_f64 v[1:2], v[1:2], v[37:38], v[19:20]
	v_fma_f64 v[3:4], v[3:4], v[37:38], -v[21:22]
	v_fma_f64 v[15:16], v[15:16], v[29:30], -v[23:24]
	v_fma_f64 v[9:10], v[9:10], v[33:34], v[25:26]
	v_fma_f64 v[13:14], v[13:14], v[29:30], v[27:28]
	v_add_f64 v[11:12], v[7:8], -v[11:12]
	v_add_f64 v[15:16], v[3:4], -v[15:16]
	;; [unrolled: 1-line block ×4, first 2 shown]
	v_fma_f64 v[17:18], v[7:8], 2.0, -v[11:12]
	v_fma_f64 v[7:8], v[3:4], 2.0, -v[15:16]
	;; [unrolled: 1-line block ×4, first 2 shown]
	v_add_f64 v[3:4], v[11:12], -v[13:14]
	v_add_f64 v[1:2], v[9:10], v[15:16]
	v_add_f64 v[7:8], v[17:18], -v[7:8]
	v_add_f64 v[5:6], v[19:20], -v[5:6]
	v_fma_f64 v[11:12], v[11:12], 2.0, -v[3:4]
	v_fma_f64 v[9:10], v[9:10], 2.0, -v[1:2]
	;; [unrolled: 1-line block ×3, first 2 shown]
	v_lshlrev_b32_e32 v17, 2, v92
	v_fma_f64 v[13:14], v[19:20], 2.0, -v[5:6]
	v_and_or_b32 v17, 0x68, v17, v77
	v_lshlrev_b32_e32 v17, 8, v17
	v_add3_u32 v17, 0, v17, v88
	ds_write_b128 v17, v[9:12] offset:512
	ds_write_b128 v17, v[5:8] offset:1024
	ds_write_b128 v17, v[13:16]
	ds_write_b128 v17, v[1:4] offset:1536
.LBB0_6:
	s_or_b32 exec_lo, exec_lo, s2
	v_mul_u32_u24_e32 v1, 6, v99
	s_waitcnt lgkmcnt(0)
	s_barrier
	buffer_gl0_inv
	v_lshlrev_b32_e32 v73, 8, v94
	v_lshlrev_b32_e32 v1, 4, v1
	v_or_b32_e32 v77, 0xffffffc8, v99
	v_cmp_gt_u32_e32 vcc_lo, 0x380, v0
	v_or_b32_e32 v78, 0xffffffd0, v99
	v_add3_u32 v102, 0, v73, v88
	s_clause 0x5
	global_load_dwordx4 v[29:32], v1, s[8:9] offset:96
	global_load_dwordx4 v[25:28], v1, s[8:9] offset:112
	;; [unrolled: 1-line block ×6, first 2 shown]
	ds_read_b128 v[65:68], v91
	ds_read_b128 v[1:4], v90
	ds_read_b128 v[57:60], v95 offset:24576
	ds_read_b128 v[53:56], v95 offset:26624
	;; [unrolled: 1-line block ×9, first 2 shown]
	ds_read_b128 v[5:8], v95
	v_cndmask_b32_e32 v73, v77, v99, vcc_lo
	v_cmp_gt_u32_e32 vcc_lo, 0x300, v0
	v_or_b32_e32 v79, 0xffffffd8, v99
	v_or_b32_e32 v80, 0xffffffe0, v99
	ds_read_b128 v[103:106], v102
	v_or_b32_e32 v81, 0xffffffe8, v99
	v_cndmask_b32_e32 v83, v78, v93, vcc_lo
	v_cmp_gt_u32_e32 vcc_lo, 0x280, v0
	v_lshlrev_b32_e32 v75, 8, v98
	v_lshrrev_b32_e32 v76, 3, v93
	v_or_b32_e32 v107, -16, v99
	v_or_b32_e32 v108, -8, v99
	v_cndmask_b32_e32 v77, v79, v89, vcc_lo
	v_cmp_gt_u32_e32 vcc_lo, 0x200, v0
	v_add3_u32 v101, 0, v75, v88
	v_mul_u32_u24_e32 v121, 56, v76
	v_mov_b32_e32 v74, 0
	s_mov_b32 s4, 0x37e14327
	v_cndmask_b32_e32 v85, v80, v92, vcc_lo
	v_cmp_gt_u32_e32 vcc_lo, 0x180, v0
	v_or_b32_e32 v99, v121, v99
	v_lshlrev_b64 v[123:124], 4, v[73:74]
	v_mov_b32_e32 v84, v74
	s_mov_b32 s2, 0x36b3c0b5
	v_cndmask_b32_e32 v81, v81, v94, vcc_lo
	v_cmp_gt_u32_e32 vcc_lo, 0x100, v0
	s_mov_b32 s24, 0xe976ee23
	s_mov_b32 s6, 0x429ad128
	;; [unrolled: 1-line block ×4, first 2 shown]
	v_cndmask_b32_e32 v79, v107, v96, vcc_lo
	v_cmp_gt_u32_e32 vcc_lo, 0x80, v0
	s_mov_b32 s25, 0x3fe11646
	s_mov_b32 s7, 0xbfebfeb5
	v_lshlrev_b64 v[125:126], 4, v[83:84]
	s_mov_b32 s20, 0xaaaaaaaa
	v_cndmask_b32_e32 v75, v108, v98, vcc_lo
	ds_read_b128 v[107:110], v101
	s_mov_b32 s22, 0x5476071b
	s_mov_b32 s28, 0xb247c609
	s_mov_b32 s21, 0xbff2aaaa
	s_mov_b32 s23, 0x3fe77f67
	s_mov_b32 s27, 0xbfe77f67
	s_mov_b32 s29, 0xbfd5d0dc
	s_mov_b32 s35, 0x3fd5d0dc
	s_mov_b32 s26, s22
	s_mov_b32 s34, s28
	s_mov_b32 s30, 0x37c3f68c
	s_mov_b32 s31, 0xbfdc38aa
	v_mov_b32_e32 v78, v74
	v_mov_b32_e32 v86, v74
	;; [unrolled: 1-line block ×3, first 2 shown]
	s_waitcnt vmcnt(0) lgkmcnt(0)
	s_barrier
	v_lshlrev_b64 v[127:128], 4, v[77:78]
	v_lshlrev_b64 v[129:130], 4, v[85:86]
	buffer_gl0_inv
	v_mov_b32_e32 v82, v74
	v_mov_b32_e32 v80, v74
	s_mul_hi_u32 s15, s18, s33
	v_mul_f64 v[111:112], v[67:68], v[31:32]
	v_mul_f64 v[113:114], v[65:66], v[31:32]
	;; [unrolled: 1-line block ×10, first 2 shown]
	v_fma_f64 v[65:66], v[65:66], v[29:30], v[111:112]
	v_fma_f64 v[67:68], v[67:68], v[29:30], -v[113:114]
	v_fma_f64 v[69:70], v[69:70], v[29:30], v[115:116]
	v_fma_f64 v[29:30], v[71:72], v[29:30], -v[31:32]
	v_mul_f64 v[31:32], v[35:36], v[19:20]
	v_mul_f64 v[71:72], v[33:34], v[19:20]
	;; [unrolled: 1-line block ×6, first 2 shown]
	v_fma_f64 v[103:104], v[103:104], v[25:26], v[117:118]
	v_fma_f64 v[105:106], v[105:106], v[25:26], -v[119:120]
	v_mul_f64 v[115:116], v[109:110], v[15:16]
	v_mul_f64 v[117:118], v[107:108], v[15:16]
	v_fma_f64 v[61:62], v[61:62], v[25:26], v[121:122]
	v_fma_f64 v[25:26], v[63:64], v[25:26], -v[27:28]
	v_mul_f64 v[27:28], v[51:52], v[11:12]
	v_mul_f64 v[63:64], v[49:50], v[11:12]
	;; [unrolled: 1-line block ×4, first 2 shown]
	v_fma_f64 v[57:58], v[57:58], v[45:46], v[131:132]
	v_fma_f64 v[59:60], v[59:60], v[45:46], -v[133:134]
	v_mul_f64 v[121:122], v[43:44], v[11:12]
	v_mul_f64 v[11:12], v[41:42], v[11:12]
	v_lshlrev_b64 v[133:134], 4, v[75:76]
	v_lshlrev_b32_e32 v76, 8, v99
	v_fma_f64 v[31:32], v[33:34], v[17:18], v[31:32]
	v_fma_f64 v[33:34], v[35:36], v[17:18], -v[71:72]
	v_fma_f64 v[53:54], v[53:54], v[45:46], v[111:112]
	v_fma_f64 v[45:46], v[55:56], v[45:46], -v[47:48]
	;; [unrolled: 2-line block ×3, first 2 shown]
	v_add_co_u32 v71, vcc_lo, s8, v123
	v_fma_f64 v[19:20], v[107:108], v[13:14], v[115:116]
	v_fma_f64 v[37:38], v[109:110], v[13:14], -v[117:118]
	v_add_co_ci_u32_e32 v72, vcc_lo, s9, v124, vcc_lo
	v_fma_f64 v[27:28], v[49:50], v[9:10], v[27:28]
	v_fma_f64 v[39:40], v[51:52], v[9:10], -v[63:64]
	v_fma_f64 v[21:22], v[21:22], v[13:14], v[119:120]
	v_fma_f64 v[13:14], v[23:24], v[13:14], -v[15:16]
	v_add_co_u32 v63, vcc_lo, s8, v125
	v_fma_f64 v[15:16], v[41:42], v[9:10], v[121:122]
	v_fma_f64 v[9:10], v[43:44], v[9:10], -v[11:12]
	v_add_f64 v[11:12], v[65:66], v[57:58]
	v_add_f64 v[23:24], v[67:68], v[59:60]
	;; [unrolled: 1-line block ×8, first 2 shown]
	v_add_f64 v[31:32], v[103:104], -v[31:32]
	v_add_f64 v[33:34], v[105:106], -v[33:34]
	;; [unrolled: 1-line block ×6, first 2 shown]
	v_add_f64 v[109:110], v[19:20], v[27:28]
	v_add_f64 v[103:104], v[37:38], v[39:40]
	v_add_f64 v[19:20], v[27:28], -v[19:20]
	v_add_f64 v[27:28], v[39:40], -v[37:38]
	;; [unrolled: 1-line block ×3, first 2 shown]
	v_add_co_ci_u32_e32 v64, vcc_lo, s9, v126, vcc_lo
	v_add_f64 v[37:38], v[21:22], v[15:16]
	v_add_f64 v[15:16], v[15:16], -v[21:22]
	v_add_f64 v[39:40], v[13:14], v[9:10]
	v_add_f64 v[21:22], v[41:42], v[11:12]
	v_add_f64 v[25:26], v[43:44], v[23:24]
	v_add_f64 v[9:10], v[9:10], -v[13:14]
	v_add_f64 v[13:14], v[29:30], -v[45:46]
	v_add_f64 v[29:30], v[51:52], v[47:48]
	v_add_f64 v[45:46], v[55:56], v[49:50]
	v_add_f64 v[61:62], v[41:42], -v[11:12]
	v_add_f64 v[65:66], v[43:44], -v[23:24]
	;; [unrolled: 1-line block ×3, first 2 shown]
	v_add_co_u32 v107, vcc_lo, s8, v127
	v_add_co_ci_u32_e32 v108, vcc_lo, s9, v128, vcc_lo
	v_add_f64 v[11:12], v[11:12], -v[109:110]
	v_add_f64 v[41:42], v[109:110], -v[41:42]
	;; [unrolled: 1-line block ×4, first 2 shown]
	v_add_f64 v[67:68], v[19:20], v[31:32]
	v_add_f64 v[69:70], v[27:28], v[33:34]
	v_add_f64 v[105:106], v[19:20], -v[31:32]
	v_add_f64 v[113:114], v[27:28], -v[33:34]
	;; [unrolled: 1-line block ×3, first 2 shown]
	v_add_f64 v[21:22], v[109:110], v[21:22]
	v_add_f64 v[25:26], v[103:104], v[25:26]
	v_add_f64 v[33:34], v[33:34], -v[59:60]
	v_add_f64 v[121:122], v[49:50], -v[39:40]
	;; [unrolled: 1-line block ×6, first 2 shown]
	v_add_f64 v[29:30], v[37:38], v[29:30]
	v_add_f64 v[37:38], v[39:40], v[45:46]
	;; [unrolled: 1-line block ×4, first 2 shown]
	v_add_f64 v[49:50], v[55:56], -v[49:50]
	v_add_f64 v[55:56], v[39:40], -v[55:56]
	;; [unrolled: 1-line block ×6, first 2 shown]
	v_mul_f64 v[11:12], v[11:12], s[4:5]
	v_mul_f64 v[39:40], v[41:42], s[2:3]
	;; [unrolled: 1-line block ×4, first 2 shown]
	v_add_f64 v[57:58], v[67:68], v[57:58]
	v_mul_f64 v[67:68], v[105:106], s[24:25]
	v_add_f64 v[59:60], v[69:70], v[59:60]
	v_mul_f64 v[69:70], v[31:32], s[6:7]
	v_mul_f64 v[105:106], v[113:114], s[24:25]
	v_add_f64 v[5:6], v[5:6], v[21:22]
	v_add_f64 v[7:8], v[7:8], v[25:26]
	v_add_f64 v[15:16], v[53:54], -v[15:16]
	v_add_f64 v[9:10], v[13:14], -v[9:10]
	v_mul_f64 v[109:110], v[33:34], s[6:7]
	v_mul_f64 v[113:114], v[121:122], s[4:5]
	;; [unrolled: 1-line block ×5, first 2 shown]
	v_add_f64 v[1:2], v[1:2], v[29:30]
	v_add_f64 v[3:4], v[3:4], v[37:38]
	;; [unrolled: 1-line block ×4, first 2 shown]
	v_mul_f64 v[117:118], v[51:52], s[2:3]
	v_mul_f64 v[119:120], v[55:56], s[2:3]
	;; [unrolled: 1-line block ×4, first 2 shown]
	v_fma_f64 v[41:42], v[41:42], s[2:3], v[11:12]
	v_fma_f64 v[39:40], v[61:62], s[22:23], -v[39:40]
	v_fma_f64 v[11:12], v[61:62], s[26:27], -v[11:12]
	v_fma_f64 v[43:44], v[43:44], s[2:3], v[23:24]
	v_fma_f64 v[45:46], v[65:66], s[22:23], -v[45:46]
	v_fma_f64 v[23:24], v[65:66], s[26:27], -v[23:24]
	;; [unrolled: 3-line block ×3, first 2 shown]
	v_fma_f64 v[65:66], v[27:28], s[28:29], v[105:106]
	v_fma_f64 v[33:34], v[33:34], s[6:7], -v[105:106]
	v_fma_f64 v[21:22], v[21:22], s[20:21], v[5:6]
	v_fma_f64 v[25:26], v[25:26], s[20:21], v[7:8]
	v_fma_f64 v[27:28], v[27:28], s[34:35], -v[109:110]
	v_fma_f64 v[69:70], v[15:16], s[28:29], v[121:122]
	v_fma_f64 v[105:106], v[9:10], s[28:29], v[103:104]
	;; [unrolled: 1-line block ×6, first 2 shown]
	v_fma_f64 v[67:68], v[115:116], s[22:23], -v[117:118]
	v_fma_f64 v[47:48], v[115:116], s[26:27], -v[47:48]
	;; [unrolled: 1-line block ×8, first 2 shown]
	v_fma_f64 v[61:62], v[57:58], s[30:31], v[61:62]
	v_fma_f64 v[31:32], v[57:58], s[30:31], v[31:32]
	;; [unrolled: 1-line block ×5, first 2 shown]
	v_add_f64 v[33:34], v[41:42], v[21:22]
	v_add_f64 v[41:42], v[43:44], v[25:26]
	v_fma_f64 v[27:28], v[59:60], s[30:31], v[27:28]
	v_add_f64 v[43:44], v[45:46], v[25:26]
	v_fma_f64 v[59:60], v[53:54], s[30:31], v[69:70]
	v_fma_f64 v[69:70], v[13:14], s[30:31], v[105:106]
	v_add_f64 v[45:46], v[11:12], v[21:22]
	v_add_f64 v[105:106], v[23:24], v[25:26]
	;; [unrolled: 1-line block ×5, first 2 shown]
	v_fma_f64 v[109:110], v[53:54], s[30:31], v[35:36]
	v_add_f64 v[51:52], v[67:68], v[29:30]
	v_fma_f64 v[53:54], v[53:54], s[30:31], v[15:16]
	v_fma_f64 v[115:116], v[13:14], s[30:31], v[9:10]
	v_add_f64 v[67:68], v[103:104], v[37:38]
	v_add_f64 v[103:104], v[47:48], v[29:30]
	;; [unrolled: 1-line block ×3, first 2 shown]
	v_fma_f64 v[113:114], v[13:14], s[30:31], v[17:18]
	v_add_co_u32 v121, vcc_lo, s8, v129
	v_add_co_ci_u32_e32 v122, vcc_lo, s9, v130, vcc_lo
	v_add_f64 v[9:10], v[65:66], v[33:34]
	v_add_f64 v[11:12], v[41:42], -v[61:62]
	v_add_f64 v[15:16], v[31:32], v[43:44]
	v_add_f64 v[29:30], v[33:34], -v[65:66]
	v_lshlrev_b64 v[111:112], 4, v[81:82]
	v_add_f64 v[21:22], v[27:28], v[45:46]
	v_add_f64 v[23:24], v[105:106], -v[57:58]
	v_add_f64 v[13:14], v[39:40], -v[19:20]
	v_add_f64 v[17:18], v[19:20], v[39:40]
	v_add_f64 v[19:20], v[43:44], -v[31:32]
	v_add_f64 v[25:26], v[45:46], -v[27:28]
	v_add_f64 v[27:28], v[57:58], v[105:106]
	v_add_f64 v[31:32], v[61:62], v[41:42]
	v_add_f64 v[33:34], v[69:70], v[117:118]
	v_add_f64 v[35:36], v[55:56], -v[59:60]
	v_add_f64 v[45:46], v[115:116], v[103:104]
	v_add_f64 v[47:48], v[119:120], -v[53:54]
	v_add_f64 v[37:38], v[51:52], -v[113:114]
	v_add_f64 v[39:40], v[109:110], v[67:68]
	v_add_f64 v[41:42], v[113:114], v[51:52]
	v_add_f64 v[43:44], v[67:68], -v[109:110]
	v_add_f64 v[49:50], v[103:104], -v[115:116]
	v_add_f64 v[51:52], v[53:54], v[119:120]
	v_add_f64 v[53:54], v[117:118], -v[69:70]
	v_add_f64 v[55:56], v[59:60], v[55:56]
	v_add3_u32 v61, 0, v76, v88
	ds_write_b128 v97, v[5:8]
	ds_write_b128 v97, v[9:12] offset:2048
	ds_write_b128 v97, v[21:24] offset:4096
	;; [unrolled: 1-line block ×6, first 2 shown]
	ds_write_b128 v61, v[1:4]
	ds_write_b128 v61, v[33:36] offset:2048
	ds_write_b128 v61, v[45:48] offset:4096
	;; [unrolled: 1-line block ×6, first 2 shown]
	s_waitcnt lgkmcnt(0)
	s_barrier
	buffer_gl0_inv
	s_clause 0x3
	global_load_dwordx4 v[1:4], v[71:72], off offset:864
	global_load_dwordx4 v[5:8], v[63:64], off offset:864
	;; [unrolled: 1-line block ×4, first 2 shown]
	v_lshlrev_b64 v[131:132], 4, v[79:80]
	v_add_co_u32 v57, vcc_lo, s8, v111
	v_add_co_ci_u32_e32 v58, vcc_lo, s9, v112, vcc_lo
	v_lshlrev_b32_e32 v31, 8, v96
	v_add_co_u32 v59, vcc_lo, s8, v131
	v_add_co_ci_u32_e32 v60, vcc_lo, s9, v132, vcc_lo
	v_add_co_u32 v25, vcc_lo, s8, v133
	v_add_co_ci_u32_e32 v26, vcc_lo, s9, v134, vcc_lo
	s_clause 0x2
	global_load_dwordx4 v[17:20], v[57:58], off offset:864
	global_load_dwordx4 v[21:24], v[59:60], off offset:864
	;; [unrolled: 1-line block ×3, first 2 shown]
	v_cmp_lt_u32_e32 vcc_lo, 0x37f, v0
	v_mad_u64_u32 v[29:30], null, s12, v87, 0
	v_add3_u32 v76, 0, v31, v88
	v_sub_nc_u32_e32 v33, v93, v83
	v_cndmask_b32_e64 v0, 0, 0x70, vcc_lo
	s_mul_i32 s8, s14, 56
	s_mul_i32 s3, s17, s10
	s_mul_hi_u32 s5, s16, s10
	v_add_nc_u32_e32 v38, v33, v93
	v_add_nc_u32_e32 v31, v73, v0
	v_mov_b32_e32 v0, v30
	s_mul_i32 s6, s16, s10
	s_add_i32 s7, s5, s3
	s_mul_i32 s9, s13, s11
	v_mul_lo_u32 v73, v31, s14
	s_mul_hi_u32 s10, s12, s11
	s_mul_i32 s4, s12, s11
	s_mul_i32 s11, s19, s33
	s_lshl_b64 s[6:7], s[6:7], 4
	s_add_i32 s5, s10, s9
	s_add_i32 s3, s15, s11
	s_add_u32 s6, s0, s6
	v_sub_nc_u32_e32 v35, v89, v77
	v_sub_nc_u32_e32 v36, v92, v85
	s_addc_u32 s7, s1, s7
	s_lshl_b64 s[0:1], s[4:5], 4
	s_mul_i32 s2, s18, s33
	s_add_u32 s4, s6, s0
	s_addc_u32 s5, s7, s1
	s_lshl_b64 s[0:1], s[2:3], 4
	v_add_nc_u32_e32 v40, v36, v92
	s_add_u32 s0, s0, s4
	s_addc_u32 s1, s1, s5
	v_sub_nc_u32_e32 v37, v96, v79
	v_add3_u32 v69, 0, v100, v88
	v_sub_nc_u32_e32 v39, v98, v75
	v_add_nc_u32_e32 v65, v37, v96
	v_add_nc_u32_e32 v100, v39, v98
	s_waitcnt vmcnt(6)
	v_mad_u64_u32 v[30:31], null, s13, v87, v[0:1]
	v_lshlrev_b64 v[31:32], 4, v[73:74]
	v_add_nc_u32_e32 v73, s8, v73
	v_sub_nc_u32_e32 v0, v94, v81
	v_lshlrev_b64 v[33:34], 4, v[73:74]
	v_mul_lo_u32 v73, v38, s14
	v_lshlrev_b64 v[29:30], 4, v[29:30]
	v_add_nc_u32_e32 v38, v35, v89
	v_add_nc_u32_e32 v0, v0, v94
	v_add_co_u32 v121, vcc_lo, s0, v29
	v_lshlrev_b64 v[35:36], 4, v[73:74]
	v_add_nc_u32_e32 v73, s8, v73
	v_add_co_ci_u32_e32 v122, vcc_lo, s1, v30, vcc_lo
	v_add_co_u32 v79, vcc_lo, v121, v31
	v_lshlrev_b64 v[29:30], 4, v[73:74]
	v_mul_lo_u32 v73, v38, s14
	v_add_co_ci_u32_e32 v80, vcc_lo, v122, v32, vcc_lo
	v_add_co_u32 v81, vcc_lo, v121, v33
	v_add_co_ci_u32_e32 v82, vcc_lo, v122, v34, vcc_lo
	v_add_co_u32 v83, vcc_lo, v121, v35
	v_lshlrev_b64 v[31:32], 4, v[73:74]
	v_add_nc_u32_e32 v73, s8, v73
	v_add_co_ci_u32_e32 v84, vcc_lo, v122, v36, vcc_lo
	v_add_co_u32 v85, vcc_lo, v121, v29
	v_lshlrev_b64 v[33:34], 4, v[73:74]
	v_mul_lo_u32 v73, v40, s14
	v_add_co_ci_u32_e32 v86, vcc_lo, v122, v30, vcc_lo
	v_add_co_u32 v87, vcc_lo, v121, v31
	v_add_co_ci_u32_e32 v88, vcc_lo, v122, v32, vcc_lo
	v_add_co_u32 v92, vcc_lo, v121, v33
	v_add_co_ci_u32_e32 v93, vcc_lo, v122, v34, vcc_lo
	ds_read_b128 v[29:32], v95
	ds_read_b128 v[33:36], v95 offset:14336
	v_lshlrev_b64 v[53:54], 4, v[73:74]
	ds_read_b128 v[37:40], v95 offset:16384
	ds_read_b128 v[41:44], v95 offset:18432
	;; [unrolled: 1-line block ×5, first 2 shown]
	v_add_nc_u32_e32 v73, s8, v73
	v_add_co_u32 v96, vcc_lo, v121, v53
	v_add_co_ci_u32_e32 v97, vcc_lo, v122, v54, vcc_lo
	ds_read_b128 v[53:56], v95 offset:24576
	v_lshlrev_b64 v[61:62], 4, v[73:74]
	v_mul_lo_u32 v73, v0, s14
	v_add_co_u32 v94, vcc_lo, v121, v61
	s_waitcnt lgkmcnt(6)
	v_mul_f64 v[103:104], v[35:36], v[3:4]
	v_mul_f64 v[3:4], v[33:34], v[3:4]
	s_waitcnt vmcnt(5) lgkmcnt(5)
	v_mul_f64 v[105:106], v[39:40], v[7:8]
	v_mul_f64 v[7:8], v[37:38], v[7:8]
	s_waitcnt vmcnt(4) lgkmcnt(4)
	v_mul_f64 v[107:108], v[43:44], v[11:12]
	v_mul_f64 v[11:12], v[41:42], v[11:12]
	s_waitcnt vmcnt(3) lgkmcnt(3)
	v_mul_f64 v[109:110], v[47:48], v[15:16]
	v_mul_f64 v[15:16], v[45:46], v[15:16]
	s_waitcnt vmcnt(2) lgkmcnt(2)
	v_mul_f64 v[111:112], v[51:52], v[19:20]
	v_mul_f64 v[19:20], v[49:50], v[19:20]
	s_waitcnt vmcnt(0) lgkmcnt(1)
	v_mul_f64 v[115:116], v[59:60], v[27:28]
	s_waitcnt lgkmcnt(0)
	v_mul_f64 v[113:114], v[55:56], v[23:24]
	v_mul_f64 v[23:24], v[53:54], v[23:24]
	;; [unrolled: 1-line block ×3, first 2 shown]
	v_lshlrev_b64 v[63:64], 4, v[73:74]
	v_add_nc_u32_e32 v73, s8, v73
	v_add_co_ci_u32_e32 v95, vcc_lo, v122, v62, vcc_lo
	v_add_co_u32 v117, vcc_lo, v121, v63
	v_fma_f64 v[33:34], v[33:34], v[1:2], v[103:104]
	v_fma_f64 v[35:36], v[35:36], v[1:2], -v[3:4]
	v_fma_f64 v[37:38], v[37:38], v[5:6], v[105:106]
	v_fma_f64 v[39:40], v[39:40], v[5:6], -v[7:8]
	;; [unrolled: 2-line block ×4, first 2 shown]
	v_lshlrev_b64 v[98:99], 4, v[73:74]
	v_mul_lo_u32 v73, v65, s14
	v_add_co_ci_u32_e32 v118, vcc_lo, v122, v64, vcc_lo
	ds_read_b128 v[61:64], v90
	ds_read_b128 v[65:68], v91
	;; [unrolled: 1-line block ×4, first 2 shown]
	v_fma_f64 v[49:50], v[49:50], v[17:18], v[111:112]
	v_fma_f64 v[51:52], v[51:52], v[17:18], -v[19:20]
	v_fma_f64 v[53:54], v[53:54], v[21:22], v[113:114]
	ds_read_b128 v[0:3], v102
	ds_read_b128 v[4:7], v101
	v_fma_f64 v[55:56], v[55:56], v[21:22], -v[23:24]
	v_fma_f64 v[57:58], v[57:58], v[25:26], v[115:116]
	v_fma_f64 v[59:60], v[59:60], v[25:26], -v[27:28]
	v_lshlrev_b64 v[119:120], 4, v[73:74]
	v_add_f64 v[8:9], v[29:30], -v[33:34]
	v_add_f64 v[10:11], v[31:32], -v[35:36]
	v_add_nc_u32_e32 v73, s8, v73
	v_add_co_u32 v89, vcc_lo, v121, v98
	v_add_co_ci_u32_e32 v90, vcc_lo, v122, v99, vcc_lo
	s_waitcnt lgkmcnt(5)
	v_add_f64 v[12:13], v[61:62], -v[37:38]
	v_add_f64 v[14:15], v[63:64], -v[39:40]
	s_waitcnt lgkmcnt(4)
	v_add_f64 v[16:17], v[65:66], -v[41:42]
	v_add_f64 v[18:19], v[67:68], -v[43:44]
	;; [unrolled: 3-line block ×3, first 2 shown]
	v_lshlrev_b64 v[98:99], 4, v[73:74]
	s_waitcnt lgkmcnt(1)
	v_add_f64 v[24:25], v[0:1], -v[49:50]
	v_add_f64 v[26:27], v[2:3], -v[51:52]
	;; [unrolled: 1-line block ×3, first 2 shown]
	v_mul_lo_u32 v73, v100, s14
	v_add_f64 v[35:36], v[77:78], -v[55:56]
	s_waitcnt lgkmcnt(0)
	v_add_f64 v[37:38], v[4:5], -v[57:58]
	v_add_f64 v[39:40], v[6:7], -v[59:60]
	v_add_co_u32 v57, vcc_lo, v121, v119
	v_fma_f64 v[28:29], v[29:30], 2.0, -v[8:9]
	v_fma_f64 v[30:31], v[31:32], 2.0, -v[10:11]
	v_add_co_ci_u32_e32 v58, vcc_lo, v122, v120, vcc_lo
	v_add_co_u32 v59, vcc_lo, v121, v98
	v_fma_f64 v[41:42], v[61:62], 2.0, -v[12:13]
	v_fma_f64 v[43:44], v[63:64], 2.0, -v[14:15]
	;; [unrolled: 1-line block ×6, first 2 shown]
	v_add_co_ci_u32_e32 v60, vcc_lo, v122, v99, vcc_lo
	v_fma_f64 v[0:1], v[0:1], 2.0, -v[24:25]
	v_fma_f64 v[2:3], v[2:3], 2.0, -v[26:27]
	v_lshlrev_b64 v[98:99], 4, v[73:74]
	v_add_nc_u32_e32 v73, s8, v73
	v_fma_f64 v[53:54], v[75:76], 2.0, -v[33:34]
	v_fma_f64 v[55:56], v[77:78], 2.0, -v[35:36]
	;; [unrolled: 1-line block ×4, first 2 shown]
	v_lshlrev_b64 v[61:62], 4, v[73:74]
	v_add_co_u32 v63, vcc_lo, v121, v98
	v_add_co_ci_u32_e32 v64, vcc_lo, v122, v99, vcc_lo
	v_add_co_u32 v61, vcc_lo, v121, v61
	v_add_co_ci_u32_e32 v62, vcc_lo, v122, v62, vcc_lo
	global_store_dwordx4 v[79:80], v[28:31], off
	global_store_dwordx4 v[81:82], v[8:11], off
	;; [unrolled: 1-line block ×14, first 2 shown]
	s_endpgm
	.section	.rodata,"a",@progbits
	.p2align	6, 0x0
	.amdhsa_kernel fft_rtc_back_len112_factors_2_4_7_2_wgs_128_tpt_8_dim3_dp_op_CI_CI_sbrc_aligned_dirReg
		.amdhsa_group_segment_fixed_size 0
		.amdhsa_private_segment_fixed_size 0
		.amdhsa_kernarg_size 96
		.amdhsa_user_sgpr_count 6
		.amdhsa_user_sgpr_private_segment_buffer 1
		.amdhsa_user_sgpr_dispatch_ptr 0
		.amdhsa_user_sgpr_queue_ptr 0
		.amdhsa_user_sgpr_kernarg_segment_ptr 1
		.amdhsa_user_sgpr_dispatch_id 0
		.amdhsa_user_sgpr_flat_scratch_init 0
		.amdhsa_user_sgpr_private_segment_size 0
		.amdhsa_wavefront_size32 1
		.amdhsa_uses_dynamic_stack 0
		.amdhsa_system_sgpr_private_segment_wavefront_offset 0
		.amdhsa_system_sgpr_workgroup_id_x 1
		.amdhsa_system_sgpr_workgroup_id_y 0
		.amdhsa_system_sgpr_workgroup_id_z 0
		.amdhsa_system_sgpr_workgroup_info 0
		.amdhsa_system_vgpr_workitem_id 0
		.amdhsa_next_free_vgpr 135
		.amdhsa_next_free_sgpr 36
		.amdhsa_reserve_vcc 1
		.amdhsa_reserve_flat_scratch 0
		.amdhsa_float_round_mode_32 0
		.amdhsa_float_round_mode_16_64 0
		.amdhsa_float_denorm_mode_32 3
		.amdhsa_float_denorm_mode_16_64 3
		.amdhsa_dx10_clamp 1
		.amdhsa_ieee_mode 1
		.amdhsa_fp16_overflow 0
		.amdhsa_workgroup_processor_mode 1
		.amdhsa_memory_ordered 1
		.amdhsa_forward_progress 0
		.amdhsa_shared_vgpr_count 0
		.amdhsa_exception_fp_ieee_invalid_op 0
		.amdhsa_exception_fp_denorm_src 0
		.amdhsa_exception_fp_ieee_div_zero 0
		.amdhsa_exception_fp_ieee_overflow 0
		.amdhsa_exception_fp_ieee_underflow 0
		.amdhsa_exception_fp_ieee_inexact 0
		.amdhsa_exception_int_div_zero 0
	.end_amdhsa_kernel
	.text
.Lfunc_end0:
	.size	fft_rtc_back_len112_factors_2_4_7_2_wgs_128_tpt_8_dim3_dp_op_CI_CI_sbrc_aligned_dirReg, .Lfunc_end0-fft_rtc_back_len112_factors_2_4_7_2_wgs_128_tpt_8_dim3_dp_op_CI_CI_sbrc_aligned_dirReg
                                        ; -- End function
	.section	.AMDGPU.csdata,"",@progbits
; Kernel info:
; codeLenInByte = 8704
; NumSgprs: 38
; NumVgprs: 135
; ScratchSize: 0
; MemoryBound: 0
; FloatMode: 240
; IeeeMode: 1
; LDSByteSize: 0 bytes/workgroup (compile time only)
; SGPRBlocks: 4
; VGPRBlocks: 16
; NumSGPRsForWavesPerEU: 38
; NumVGPRsForWavesPerEU: 135
; Occupancy: 7
; WaveLimiterHint : 1
; COMPUTE_PGM_RSRC2:SCRATCH_EN: 0
; COMPUTE_PGM_RSRC2:USER_SGPR: 6
; COMPUTE_PGM_RSRC2:TRAP_HANDLER: 0
; COMPUTE_PGM_RSRC2:TGID_X_EN: 1
; COMPUTE_PGM_RSRC2:TGID_Y_EN: 0
; COMPUTE_PGM_RSRC2:TGID_Z_EN: 0
; COMPUTE_PGM_RSRC2:TIDIG_COMP_CNT: 0
	.text
	.p2alignl 6, 3214868480
	.fill 48, 4, 3214868480
	.type	__hip_cuid_9c44129f188f24b8,@object ; @__hip_cuid_9c44129f188f24b8
	.section	.bss,"aw",@nobits
	.globl	__hip_cuid_9c44129f188f24b8
__hip_cuid_9c44129f188f24b8:
	.byte	0                               ; 0x0
	.size	__hip_cuid_9c44129f188f24b8, 1

	.ident	"AMD clang version 19.0.0git (https://github.com/RadeonOpenCompute/llvm-project roc-6.4.0 25133 c7fe45cf4b819c5991fe208aaa96edf142730f1d)"
	.section	".note.GNU-stack","",@progbits
	.addrsig
	.addrsig_sym __hip_cuid_9c44129f188f24b8
	.amdgpu_metadata
---
amdhsa.kernels:
  - .args:
      - .actual_access:  read_only
        .address_space:  global
        .offset:         0
        .size:           8
        .value_kind:     global_buffer
      - .actual_access:  read_only
        .address_space:  global
        .offset:         8
        .size:           8
        .value_kind:     global_buffer
      - .actual_access:  read_only
        .address_space:  global
        .offset:         16
        .size:           8
        .value_kind:     global_buffer
      - .actual_access:  read_only
        .address_space:  global
        .offset:         24
        .size:           8
        .value_kind:     global_buffer
      - .offset:         32
        .size:           8
        .value_kind:     by_value
      - .actual_access:  read_only
        .address_space:  global
        .offset:         40
        .size:           8
        .value_kind:     global_buffer
      - .actual_access:  read_only
        .address_space:  global
        .offset:         48
        .size:           8
        .value_kind:     global_buffer
      - .offset:         56
        .size:           4
        .value_kind:     by_value
      - .actual_access:  read_only
        .address_space:  global
        .offset:         64
        .size:           8
        .value_kind:     global_buffer
      - .actual_access:  read_only
        .address_space:  global
        .offset:         72
        .size:           8
        .value_kind:     global_buffer
      - .actual_access:  read_only
        .address_space:  global
        .offset:         80
        .size:           8
        .value_kind:     global_buffer
      - .actual_access:  write_only
        .address_space:  global
        .offset:         88
        .size:           8
        .value_kind:     global_buffer
    .group_segment_fixed_size: 0
    .kernarg_segment_align: 8
    .kernarg_segment_size: 96
    .language:       OpenCL C
    .language_version:
      - 2
      - 0
    .max_flat_workgroup_size: 128
    .name:           fft_rtc_back_len112_factors_2_4_7_2_wgs_128_tpt_8_dim3_dp_op_CI_CI_sbrc_aligned_dirReg
    .private_segment_fixed_size: 0
    .sgpr_count:     38
    .sgpr_spill_count: 0
    .symbol:         fft_rtc_back_len112_factors_2_4_7_2_wgs_128_tpt_8_dim3_dp_op_CI_CI_sbrc_aligned_dirReg.kd
    .uniform_work_group_size: 1
    .uses_dynamic_stack: false
    .vgpr_count:     135
    .vgpr_spill_count: 0
    .wavefront_size: 32
    .workgroup_processor_mode: 1
amdhsa.target:   amdgcn-amd-amdhsa--gfx1030
amdhsa.version:
  - 1
  - 2
...

	.end_amdgpu_metadata
